;; amdgpu-corpus repo=ROCm/rocFFT kind=compiled arch=gfx906 opt=O3
	.text
	.amdgcn_target "amdgcn-amd-amdhsa--gfx906"
	.amdhsa_code_object_version 6
	.protected	bluestein_single_back_len500_dim1_dp_op_CI_CI ; -- Begin function bluestein_single_back_len500_dim1_dp_op_CI_CI
	.globl	bluestein_single_back_len500_dim1_dp_op_CI_CI
	.p2align	8
	.type	bluestein_single_back_len500_dim1_dp_op_CI_CI,@function
bluestein_single_back_len500_dim1_dp_op_CI_CI: ; @bluestein_single_back_len500_dim1_dp_op_CI_CI
; %bb.0:
	s_load_dwordx4 s[0:3], s[4:5], 0x28
	v_mul_u32_u24_e32 v1, 0x290, v0
	v_add_u32_sdwa v92, s6, v1 dst_sel:DWORD dst_unused:UNUSED_PAD src0_sel:DWORD src1_sel:WORD_1
	v_mov_b32_e32 v93, 0
	s_waitcnt lgkmcnt(0)
	v_cmp_gt_u64_e32 vcc, s[0:1], v[92:93]
	s_and_saveexec_b64 s[0:1], vcc
	s_cbranch_execz .LBB0_23
; %bb.1:
	s_load_dwordx2 s[14:15], s[4:5], 0x0
	s_load_dwordx2 s[12:13], s[4:5], 0x38
	s_movk_i32 s0, 0x64
	v_mul_lo_u16_sdwa v1, v1, s0 dst_sel:DWORD dst_unused:UNUSED_PAD src0_sel:WORD_1 src1_sel:DWORD
	v_sub_u16_e32 v114, v0, v1
	v_cmp_gt_u16_e64 s[0:1], 50, v114
	v_lshlrev_b32_e32 v113, 4, v114
	s_and_saveexec_b64 s[6:7], s[0:1]
	s_cbranch_execz .LBB0_3
; %bb.2:
	s_load_dwordx2 s[8:9], s[4:5], 0x18
	s_waitcnt lgkmcnt(0)
	v_mov_b32_e32 v44, s15
	s_load_dwordx4 s[8:11], s[8:9], 0x0
	s_waitcnt lgkmcnt(0)
	v_mad_u64_u32 v[0:1], s[16:17], s10, v92, 0
	v_mad_u64_u32 v[2:3], s[16:17], s8, v114, 0
	;; [unrolled: 1-line block ×4, first 2 shown]
	v_mov_b32_e32 v1, v4
	v_lshlrev_b64 v[0:1], 4, v[0:1]
	v_mov_b32_e32 v3, v5
	v_mov_b32_e32 v6, s3
	v_lshlrev_b64 v[2:3], 4, v[2:3]
	v_add_co_u32_e32 v0, vcc, s2, v0
	v_addc_co_u32_e32 v1, vcc, v6, v1, vcc
	v_add_co_u32_e32 v16, vcc, v0, v2
	s_mul_i32 s2, s9, 0x320
	s_mul_hi_u32 s3, s8, 0x320
	v_addc_co_u32_e32 v17, vcc, v1, v3, vcc
	s_add_i32 s2, s3, s2
	s_mul_i32 s3, s8, 0x320
	v_mov_b32_e32 v0, s2
	v_add_co_u32_e32 v18, vcc, s3, v16
	v_addc_co_u32_e32 v19, vcc, v17, v0, vcc
	global_load_dwordx4 v[0:3], v[16:17], off
	global_load_dwordx4 v[4:7], v[18:19], off
	global_load_dwordx4 v[8:11], v113, s[14:15]
	global_load_dwordx4 v[12:15], v113, s[14:15] offset:800
	v_mov_b32_e32 v16, s2
	v_add_co_u32_e32 v32, vcc, s3, v18
	v_addc_co_u32_e32 v33, vcc, v19, v16, vcc
	v_add_co_u32_e32 v34, vcc, s3, v32
	v_addc_co_u32_e32 v35, vcc, v33, v16, vcc
	global_load_dwordx4 v[16:19], v113, s[14:15] offset:1600
	global_load_dwordx4 v[20:23], v113, s[14:15] offset:2400
	global_load_dwordx4 v[24:27], v[32:33], off
	global_load_dwordx4 v[28:31], v[34:35], off
	v_mov_b32_e32 v32, s2
	v_add_co_u32_e32 v52, vcc, s3, v34
	v_addc_co_u32_e32 v53, vcc, v35, v32, vcc
	v_add_co_u32_e32 v45, vcc, s14, v113
	s_movk_i32 s8, 0x1000
	v_addc_co_u32_e32 v44, vcc, 0, v44, vcc
	v_add_co_u32_e32 v80, vcc, s8, v45
	v_addc_co_u32_e32 v81, vcc, 0, v44, vcc
	global_load_dwordx4 v[32:35], v[52:53], off
	v_mov_b32_e32 v54, s2
	v_add_co_u32_e32 v56, vcc, s3, v52
	global_load_dwordx4 v[36:39], v113, s[14:15] offset:3200
	global_load_dwordx4 v[40:43], v113, s[14:15] offset:4000
	v_addc_co_u32_e32 v57, vcc, v53, v54, vcc
	global_load_dwordx4 v[44:47], v[80:81], off offset:704
	global_load_dwordx4 v[48:51], v[80:81], off offset:1504
	global_load_dwordx4 v[52:55], v[56:57], off
	v_mov_b32_e32 v58, s2
	v_add_co_u32_e32 v60, vcc, s3, v56
	v_addc_co_u32_e32 v61, vcc, v57, v58, vcc
	v_mov_b32_e32 v62, s2
	v_add_co_u32_e32 v64, vcc, s3, v60
	v_addc_co_u32_e32 v65, vcc, v61, v62, vcc
	global_load_dwordx4 v[56:59], v[60:61], off
	v_mov_b32_e32 v66, s2
	v_add_co_u32_e32 v68, vcc, s3, v64
	global_load_dwordx4 v[60:63], v[64:65], off
	v_addc_co_u32_e32 v69, vcc, v65, v66, vcc
	global_load_dwordx4 v[64:67], v[68:69], off
	v_mov_b32_e32 v70, s2
	v_add_co_u32_e32 v82, vcc, s3, v68
	v_addc_co_u32_e32 v83, vcc, v69, v70, vcc
	global_load_dwordx4 v[68:71], v[80:81], off offset:2304
	global_load_dwordx4 v[72:75], v[80:81], off offset:3104
	global_load_dwordx4 v[76:79], v[82:83], off
	s_waitcnt vmcnt(17)
	v_mul_f64 v[80:81], v[2:3], v[10:11]
	s_waitcnt vmcnt(16)
	v_mul_f64 v[82:83], v[6:7], v[14:15]
	v_mul_f64 v[14:15], v[4:5], v[14:15]
	;; [unrolled: 1-line block ×3, first 2 shown]
	v_fma_f64 v[0:1], v[0:1], v[8:9], v[80:81]
	v_fma_f64 v[4:5], v[4:5], v[12:13], v[82:83]
	s_waitcnt vmcnt(13)
	v_mul_f64 v[84:85], v[26:27], v[18:19]
	v_mul_f64 v[18:19], v[24:25], v[18:19]
	v_fma_f64 v[6:7], v[6:7], v[12:13], -v[14:15]
	s_waitcnt vmcnt(12)
	v_mul_f64 v[12:13], v[30:31], v[22:23]
	v_fma_f64 v[2:3], v[2:3], v[8:9], -v[10:11]
	v_mul_f64 v[14:15], v[28:29], v[22:23]
	ds_write_b128 v113, v[0:3]
	ds_write_b128 v113, v[4:7] offset:800
	v_fma_f64 v[8:9], v[24:25], v[16:17], v[84:85]
	v_fma_f64 v[10:11], v[26:27], v[16:17], -v[18:19]
	v_fma_f64 v[12:13], v[28:29], v[20:21], v[12:13]
	v_fma_f64 v[14:15], v[30:31], v[20:21], -v[14:15]
	s_waitcnt vmcnt(10)
	v_mul_f64 v[16:17], v[34:35], v[38:39]
	v_mul_f64 v[18:19], v[32:33], v[38:39]
	s_waitcnt vmcnt(6)
	v_mul_f64 v[22:23], v[54:55], v[42:43]
	v_mul_f64 v[24:25], v[52:53], v[42:43]
	v_fma_f64 v[16:17], v[32:33], v[36:37], v[16:17]
	v_fma_f64 v[18:19], v[34:35], v[36:37], -v[18:19]
	v_fma_f64 v[20:21], v[52:53], v[40:41], v[22:23]
	v_fma_f64 v[22:23], v[54:55], v[40:41], -v[24:25]
	s_waitcnt vmcnt(5)
	v_mul_f64 v[26:27], v[58:59], v[46:47]
	v_mul_f64 v[28:29], v[56:57], v[46:47]
	s_waitcnt vmcnt(4)
	v_mul_f64 v[30:31], v[62:63], v[50:51]
	v_mul_f64 v[32:33], v[60:61], v[50:51]
	v_fma_f64 v[24:25], v[56:57], v[44:45], v[26:27]
	v_fma_f64 v[26:27], v[58:59], v[44:45], -v[28:29]
	s_waitcnt vmcnt(2)
	v_mul_f64 v[34:35], v[66:67], v[70:71]
	v_mul_f64 v[36:37], v[64:65], v[70:71]
	s_waitcnt vmcnt(0)
	v_mul_f64 v[38:39], v[78:79], v[74:75]
	v_mul_f64 v[40:41], v[76:77], v[74:75]
	v_fma_f64 v[28:29], v[60:61], v[48:49], v[30:31]
	v_fma_f64 v[30:31], v[62:63], v[48:49], -v[32:33]
	v_fma_f64 v[0:1], v[64:65], v[68:69], v[34:35]
	v_fma_f64 v[2:3], v[66:67], v[68:69], -v[36:37]
	;; [unrolled: 2-line block ×3, first 2 shown]
	ds_write_b128 v113, v[8:11] offset:1600
	ds_write_b128 v113, v[12:15] offset:2400
	;; [unrolled: 1-line block ×8, first 2 shown]
.LBB0_3:
	s_or_b64 exec, exec, s[6:7]
	s_load_dwordx2 s[6:7], s[4:5], 0x20
	s_load_dwordx2 s[2:3], s[4:5], 0x8
	s_waitcnt lgkmcnt(0)
	s_barrier
	s_waitcnt lgkmcnt(0)
                                        ; implicit-def: $vgpr24_vgpr25
                                        ; implicit-def: $vgpr0_vgpr1
                                        ; implicit-def: $vgpr20_vgpr21
                                        ; implicit-def: $vgpr4_vgpr5
                                        ; implicit-def: $vgpr28_vgpr29
                                        ; implicit-def: $vgpr8_vgpr9
                                        ; implicit-def: $vgpr32_vgpr33
                                        ; implicit-def: $vgpr12_vgpr13
                                        ; implicit-def: $vgpr36_vgpr37
                                        ; implicit-def: $vgpr16_vgpr17
	s_and_saveexec_b64 s[4:5], s[0:1]
	s_cbranch_execz .LBB0_5
; %bb.4:
	ds_read_b128 v[24:27], v113
	ds_read_b128 v[0:3], v113 offset:800
	ds_read_b128 v[20:23], v113 offset:1600
	;; [unrolled: 1-line block ×9, first 2 shown]
.LBB0_5:
	s_or_b64 exec, exec, s[4:5]
	s_waitcnt lgkmcnt(3)
	v_add_f64 v[40:41], v[28:29], v[32:33]
	v_add_f64 v[42:43], v[24:25], v[20:21]
	s_waitcnt lgkmcnt(1)
	v_add_f64 v[44:45], v[22:23], -v[38:39]
	v_add_f64 v[52:53], v[20:21], v[36:37]
	s_mov_b32 s8, 0x134454ff
	s_mov_b32 s9, 0x3fee6f0e
	v_add_f64 v[46:47], v[30:31], -v[34:35]
	v_add_f64 v[48:49], v[20:21], -v[28:29]
	v_fma_f64 v[40:41], v[40:41], -0.5, v[24:25]
	v_add_f64 v[50:51], v[36:37], -v[32:33]
	v_add_f64 v[42:43], v[42:43], v[28:29]
	v_add_f64 v[58:59], v[26:27], v[22:23]
	v_fma_f64 v[24:25], v[52:53], -0.5, v[24:25]
	s_mov_b32 s10, 0x4755a5e
	s_mov_b32 s11, 0x3fe2cf23
	;; [unrolled: 1-line block ×3, first 2 shown]
	v_fma_f64 v[54:55], v[44:45], s[8:9], v[40:41]
	s_mov_b32 s18, s8
	v_add_f64 v[56:57], v[28:29], -v[20:21]
	v_add_f64 v[60:61], v[32:33], -v[36:37]
	v_add_f64 v[48:49], v[48:49], v[50:51]
	v_add_f64 v[42:43], v[42:43], v[32:33]
	;; [unrolled: 1-line block ×3, first 2 shown]
	v_fma_f64 v[62:63], v[46:47], s[18:19], v[24:25]
	v_fma_f64 v[50:51], v[46:47], s[10:11], v[54:55]
	v_add_f64 v[54:55], v[58:59], v[30:31]
	v_fma_f64 v[58:59], v[44:45], s[18:19], v[40:41]
	s_mov_b32 s16, 0x372fe950
	s_mov_b32 s17, 0x3fd3c6ef
	;; [unrolled: 1-line block ×4, first 2 shown]
	v_fma_f64 v[64:65], v[46:47], s[8:9], v[24:25]
	v_add_f64 v[40:41], v[42:43], v[36:37]
	v_fma_f64 v[24:25], v[48:49], s[16:17], v[50:51]
	v_fma_f64 v[42:43], v[52:53], -0.5, v[26:27]
	v_add_f64 v[36:37], v[20:21], -v[36:37]
	v_fma_f64 v[20:21], v[46:47], s[20:21], v[58:59]
	v_fma_f64 v[46:47], v[44:45], s[10:11], v[62:63]
	v_add_f64 v[50:51], v[56:57], v[60:61]
	v_add_f64 v[52:53], v[22:23], v[38:39]
	v_fma_f64 v[44:45], v[44:45], s[20:21], v[64:65]
	v_add_f64 v[54:55], v[54:55], v[34:35]
	v_add_f64 v[58:59], v[28:29], -v[32:33]
	v_fma_f64 v[56:57], v[36:37], s[18:19], v[42:43]
	v_fma_f64 v[20:21], v[48:49], s[16:17], v[20:21]
	v_add_f64 v[48:49], v[22:23], -v[30:31]
	v_add_f64 v[60:61], v[38:39], -v[34:35]
	v_fma_f64 v[28:29], v[50:51], s[16:17], v[46:47]
	v_fma_f64 v[46:47], v[52:53], -0.5, v[26:27]
	v_fma_f64 v[26:27], v[50:51], s[16:17], v[44:45]
	v_add_f64 v[32:33], v[54:55], v[38:39]
	v_fma_f64 v[44:45], v[58:59], s[20:21], v[56:57]
	v_add_f64 v[50:51], v[0:1], v[4:5]
	v_add_f64 v[52:53], v[8:9], v[12:13]
	;; [unrolled: 1-line block ×3, first 2 shown]
	v_fma_f64 v[42:43], v[36:37], s[8:9], v[42:43]
	v_fma_f64 v[54:55], v[58:59], s[8:9], v[46:47]
	v_add_f64 v[30:31], v[30:31], -v[22:23]
	v_add_f64 v[34:35], v[34:35], -v[38:39]
	v_fma_f64 v[38:39], v[58:59], s[18:19], v[46:47]
	v_add_f64 v[46:47], v[50:51], v[8:9]
	v_fma_f64 v[50:51], v[52:53], -0.5, v[0:1]
	s_waitcnt lgkmcnt(0)
	v_add_f64 v[52:53], v[6:7], -v[18:19]
	v_fma_f64 v[22:23], v[48:49], s[16:17], v[44:45]
	v_fma_f64 v[42:43], v[58:59], s[10:11], v[42:43]
	;; [unrolled: 1-line block ×3, first 2 shown]
	v_add_f64 v[54:55], v[30:31], v[34:35]
	v_fma_f64 v[36:37], v[36:37], s[10:11], v[38:39]
	v_add_f64 v[38:39], v[4:5], v[16:17]
	v_add_f64 v[46:47], v[46:47], v[12:13]
	v_fma_f64 v[56:57], v[52:53], s[8:9], v[50:51]
	v_add_f64 v[58:59], v[10:11], -v[14:15]
	v_add_f64 v[60:61], v[4:5], -v[8:9]
	;; [unrolled: 1-line block ×3, first 2 shown]
	v_fma_f64 v[34:35], v[48:49], s[16:17], v[42:43]
	v_fma_f64 v[30:31], v[54:55], s[16:17], v[44:45]
	v_fma_f64 v[38:39], v[38:39], -0.5, v[0:1]
	v_add_f64 v[44:45], v[10:11], v[14:15]
	v_fma_f64 v[48:49], v[52:53], s[18:19], v[50:51]
	v_add_f64 v[50:51], v[6:7], v[18:19]
	v_fma_f64 v[0:1], v[54:55], s[16:17], v[36:37]
	;; [unrolled: 2-line block ×4, first 2 shown]
	v_add_f64 v[56:57], v[8:9], -v[4:5]
	v_add_f64 v[60:61], v[12:13], -v[16:17]
	v_add_f64 v[62:63], v[2:3], v[6:7]
	v_fma_f64 v[44:45], v[44:45], -0.5, v[2:3]
	v_add_f64 v[4:5], v[4:5], -v[16:17]
	v_add_f64 v[8:9], v[8:9], -v[12:13]
	v_fma_f64 v[2:3], v[50:51], -0.5, v[2:3]
	v_fma_f64 v[12:13], v[46:47], s[16:17], v[42:43]
	v_fma_f64 v[16:17], v[58:59], s[20:21], v[48:49]
	;; [unrolled: 1-line block ×3, first 2 shown]
	v_add_f64 v[48:49], v[56:57], v[60:61]
	v_fma_f64 v[38:39], v[58:59], s[8:9], v[38:39]
	v_add_f64 v[50:51], v[62:63], v[10:11]
	v_fma_f64 v[54:55], v[4:5], s[18:19], v[44:45]
	v_fma_f64 v[56:57], v[8:9], s[8:9], v[2:3]
	v_add_f64 v[58:59], v[10:11], -v[6:7]
	v_add_f64 v[60:61], v[14:15], -v[18:19]
	v_add_f64 v[6:7], v[6:7], -v[10:11]
	v_add_f64 v[10:11], v[18:19], -v[14:15]
	v_fma_f64 v[44:45], v[4:5], s[8:9], v[44:45]
	v_fma_f64 v[2:3], v[8:9], s[18:19], v[2:3]
	;; [unrolled: 1-line block ×3, first 2 shown]
	v_add_f64 v[14:15], v[50:51], v[14:15]
	v_fma_f64 v[50:51], v[4:5], s[20:21], v[56:57]
	v_add_f64 v[52:53], v[58:59], v[60:61]
	v_fma_f64 v[54:55], v[8:9], s[20:21], v[54:55]
	;; [unrolled: 2-line block ×3, first 2 shown]
	v_fma_f64 v[4:5], v[4:5], s[10:11], v[2:3]
	v_fma_f64 v[44:45], v[46:47], s[16:17], v[16:17]
	;; [unrolled: 1-line block ×5, first 2 shown]
	v_add_f64 v[2:3], v[14:15], v[18:19]
	s_mov_b32 s4, 0x9b97f4a8
	v_fma_f64 v[18:19], v[6:7], s[16:17], v[8:9]
	v_fma_f64 v[8:9], v[52:53], s[16:17], v[4:5]
	s_mov_b32 s5, 0x3fe9e377
	v_fma_f64 v[14:15], v[6:7], s[16:17], v[54:55]
	v_mul_f64 v[4:5], v[12:13], s[4:5]
	v_mul_f64 v[6:7], v[38:39], s[8:9]
	;; [unrolled: 1-line block ×8, first 2 shown]
	v_fma_f64 v[4:5], v[14:15], s[10:11], v[4:5]
	v_fma_f64 v[6:7], v[10:11], s[16:17], v[6:7]
	v_fma_f64 v[8:9], v[8:9], s[8:9], -v[42:43]
	v_fma_f64 v[10:11], v[18:19], s[10:11], -v[46:47]
	v_fma_f64 v[12:13], v[14:15], s[4:5], v[12:13]
	v_fma_f64 v[14:15], v[38:39], s[16:17], v[48:49]
	v_fma_f64 v[16:17], v[16:17], s[18:19], -v[50:51]
	v_fma_f64 v[18:19], v[44:45], s[20:21], -v[52:53]
	v_add_f64 v[48:49], v[40:41], -v[36:37]
	v_add_f64 v[60:61], v[24:25], -v[4:5]
	;; [unrolled: 1-line block ×10, first 2 shown]
	v_mul_lo_u16_e32 v115, 10, v114
	s_barrier
	s_and_saveexec_b64 s[4:5], s[0:1]
	s_cbranch_execz .LBB0_7
; %bb.6:
	v_add_f64 v[38:39], v[32:33], v[2:3]
	v_add_f64 v[36:37], v[40:41], v[36:37]
	;; [unrolled: 1-line block ×10, first 2 shown]
	v_lshlrev_b32_e32 v4, 4, v115
	ds_write_b128 v4, v[36:39]
	ds_write_b128 v4, v[32:35] offset:16
	ds_write_b128 v4, v[28:31] offset:32
	;; [unrolled: 1-line block ×9, first 2 shown]
.LBB0_7:
	s_or_b64 exec, exec, s[4:5]
	s_movk_i32 s22, 0xcd
	v_mul_lo_u16_sdwa v0, v114, s22 dst_sel:DWORD dst_unused:UNUSED_PAD src0_sel:BYTE_0 src1_sel:DWORD
	v_lshrrev_b16_e32 v72, 11, v0
	v_mul_lo_u16_e32 v0, 10, v72
	v_sub_u16_e32 v0, v114, v0
	v_and_b32_e32 v73, 0xff, v0
	v_lshlrev_b32_e32 v36, 6, v73
	s_load_dwordx4 s[4:7], s[6:7], 0x0
	s_waitcnt lgkmcnt(0)
	s_barrier
	ds_read_b128 v[16:19], v113
	ds_read_b128 v[20:23], v113 offset:1600
	ds_read_b128 v[24:27], v113 offset:3200
	ds_read_b128 v[28:31], v113 offset:4800
	ds_read_b128 v[32:35], v113 offset:6400
	global_load_dwordx4 v[0:3], v36, s[2:3] offset:48
	global_load_dwordx4 v[4:7], v36, s[2:3] offset:32
	;; [unrolled: 1-line block ×3, first 2 shown]
	global_load_dwordx4 v[12:15], v36, s[2:3]
	s_waitcnt vmcnt(0) lgkmcnt(0)
	s_barrier
	v_mul_f64 v[36:37], v[22:23], v[14:15]
	v_fma_f64 v[38:39], v[20:21], v[12:13], -v[36:37]
	v_mul_f64 v[20:21], v[20:21], v[14:15]
	v_fma_f64 v[20:21], v[22:23], v[12:13], v[20:21]
	v_mul_f64 v[22:23], v[26:27], v[10:11]
	v_fma_f64 v[22:23], v[24:25], v[8:9], -v[22:23]
	v_mul_f64 v[24:25], v[24:25], v[10:11]
	v_add_f64 v[36:37], v[38:39], -v[22:23]
	v_fma_f64 v[46:47], v[26:27], v[8:9], v[24:25]
	v_mul_f64 v[24:25], v[30:31], v[6:7]
	v_fma_f64 v[26:27], v[28:29], v[4:5], -v[24:25]
	v_mul_f64 v[24:25], v[28:29], v[6:7]
	v_fma_f64 v[28:29], v[30:31], v[4:5], v[24:25]
	v_mul_f64 v[24:25], v[34:35], v[2:3]
	v_add_f64 v[44:45], v[46:47], -v[28:29]
	v_fma_f64 v[30:31], v[32:33], v[0:1], -v[24:25]
	v_mul_f64 v[24:25], v[32:33], v[2:3]
	v_add_f64 v[40:41], v[30:31], -v[26:27]
	v_fma_f64 v[32:33], v[34:35], v[0:1], v[24:25]
	v_add_f64 v[24:25], v[16:17], v[38:39]
	v_add_f64 v[54:55], v[26:27], -v[30:31]
	v_add_f64 v[36:37], v[36:37], v[40:41]
	v_add_f64 v[42:43], v[20:21], -v[32:33]
	v_add_f64 v[24:25], v[24:25], v[22:23]
	v_add_f64 v[24:25], v[24:25], v[26:27]
	;; [unrolled: 1-line block ×4, first 2 shown]
	v_fma_f64 v[34:35], v[24:25], -0.5, v[16:17]
	v_fma_f64 v[24:25], v[42:43], s[8:9], v[34:35]
	v_fma_f64 v[34:35], v[42:43], s[18:19], v[34:35]
	;; [unrolled: 1-line block ×6, first 2 shown]
	v_add_f64 v[34:35], v[38:39], v[30:31]
	v_add_f64 v[36:37], v[22:23], -v[38:39]
	v_add_f64 v[30:31], v[38:39], -v[30:31]
	;; [unrolled: 1-line block ×4, first 2 shown]
	v_fma_f64 v[16:17], v[34:35], -0.5, v[16:17]
	v_add_f64 v[54:55], v[36:37], v[54:55]
	v_fma_f64 v[34:35], v[44:45], s[18:19], v[16:17]
	v_fma_f64 v[16:17], v[44:45], s[8:9], v[16:17]
	;; [unrolled: 1-line block ×6, first 2 shown]
	v_add_f64 v[16:17], v[18:19], v[20:21]
	v_add_f64 v[16:17], v[16:17], v[46:47]
	;; [unrolled: 1-line block ×5, first 2 shown]
	v_add_f64 v[28:29], v[28:29], -v[32:33]
	v_fma_f64 v[16:17], v[16:17], -0.5, v[18:19]
	v_fma_f64 v[34:35], v[30:31], s[18:19], v[16:17]
	v_fma_f64 v[16:17], v[30:31], s[8:9], v[16:17]
	;; [unrolled: 1-line block ×3, first 2 shown]
	v_add_f64 v[34:35], v[20:21], -v[46:47]
	v_fma_f64 v[16:17], v[22:23], s[10:11], v[16:17]
	v_add_f64 v[34:35], v[34:35], v[38:39]
	v_fma_f64 v[42:43], v[34:35], s[16:17], v[16:17]
	v_add_f64 v[16:17], v[20:21], v[32:33]
	v_add_f64 v[20:21], v[46:47], -v[20:21]
	v_fma_f64 v[26:27], v[34:35], s[16:17], v[26:27]
	v_fma_f64 v[16:17], v[16:17], -0.5, v[18:19]
	v_add_f64 v[20:21], v[20:21], v[28:29]
	v_fma_f64 v[18:19], v[22:23], s[8:9], v[16:17]
	v_fma_f64 v[16:17], v[22:23], s[18:19], v[16:17]
	;; [unrolled: 1-line block ×6, first 2 shown]
	v_mul_u32_u24_e32 v16, 50, v72
	v_add_lshl_u32 v116, v16, v73, 4
	ds_write_b128 v116, v[52:55]
	ds_write_b128 v116, v[24:27] offset:160
	ds_write_b128 v116, v[36:39] offset:320
	;; [unrolled: 1-line block ×4, first 2 shown]
	s_waitcnt lgkmcnt(0)
	s_barrier
	s_and_saveexec_b64 s[8:9], s[0:1]
	s_cbranch_execz .LBB0_9
; %bb.8:
	ds_read_b128 v[52:55], v113
	ds_read_b128 v[24:27], v113 offset:800
	ds_read_b128 v[36:39], v113 offset:1600
	ds_read_b128 v[44:47], v113 offset:2400
	ds_read_b128 v[40:43], v113 offset:3200
	ds_read_b128 v[48:51], v113 offset:4000
	ds_read_b128 v[60:63], v113 offset:4800
	ds_read_b128 v[64:67], v113 offset:5600
	ds_read_b128 v[68:71], v113 offset:6400
	ds_read_b128 v[56:59], v113 offset:7200
.LBB0_9:
	s_or_b64 exec, exec, s[8:9]
	v_subrev_u32_e32 v16, 50, v114
	v_cndmask_b32_e64 v16, v16, v114, s[0:1]
	v_mul_hi_i32_i24_e32 v17, 0x90, v16
	v_mul_i32_i24_e32 v16, 0x90, v16
	v_add_co_u32_e32 v76, vcc, s2, v16
	v_mov_b32_e32 v16, s3
	v_addc_co_u32_e32 v77, vcc, v16, v17, vcc
	global_load_dwordx4 v[28:31], v[76:77], off offset:688
	global_load_dwordx4 v[16:19], v[76:77], off offset:672
	;; [unrolled: 1-line block ×4, first 2 shown]
	s_mov_b32 s16, 0x134454ff
	s_mov_b32 s17, 0x3fee6f0e
	s_mov_b32 s11, 0xbfee6f0e
	s_mov_b32 s10, s16
	s_mov_b32 s18, 0x4755a5e
	s_mov_b32 s19, 0x3fe2cf23
	s_mov_b32 s3, 0xbfe2cf23
	s_mov_b32 s2, s18
	s_mov_b32 s8, 0x372fe950
	s_mov_b32 s9, 0x3fd3c6ef
	s_mov_b32 s20, 0x9b97f4a8
	s_mov_b32 s21, 0x3fe9e377
	s_waitcnt vmcnt(0) lgkmcnt(8)
	v_mul_f64 v[72:73], v[26:27], v[22:23]
	v_fma_f64 v[88:89], v[24:25], v[20:21], -v[72:73]
	v_mul_f64 v[24:25], v[24:25], v[22:23]
	v_fma_f64 v[74:75], v[26:27], v[20:21], v[24:25]
	s_waitcnt lgkmcnt(7)
	v_mul_f64 v[24:25], v[38:39], v[34:35]
	v_fma_f64 v[82:83], v[36:37], v[32:33], -v[24:25]
	v_mul_f64 v[24:25], v[36:37], v[34:35]
	v_fma_f64 v[90:91], v[38:39], v[32:33], v[24:25]
	s_waitcnt lgkmcnt(6)
	;; [unrolled: 5-line block ×3, first 2 shown]
	v_mul_f64 v[24:25], v[42:43], v[30:31]
	v_fma_f64 v[93:94], v[40:41], v[28:29], -v[24:25]
	v_mul_f64 v[24:25], v[40:41], v[30:31]
	v_add_f64 v[86:87], v[82:83], -v[93:94]
	v_fma_f64 v[105:106], v[42:43], v[28:29], v[24:25]
	global_load_dwordx4 v[40:43], v[76:77], off offset:752
	global_load_dwordx4 v[24:27], v[76:77], off offset:736
	;; [unrolled: 1-line block ×4, first 2 shown]
	s_waitcnt vmcnt(0) lgkmcnt(4)
	v_mul_f64 v[78:79], v[50:51], v[46:47]
	v_fma_f64 v[99:100], v[48:49], v[44:45], -v[78:79]
	v_mul_f64 v[48:49], v[48:49], v[46:47]
	v_fma_f64 v[84:85], v[50:51], v[44:45], v[48:49]
	s_waitcnt lgkmcnt(3)
	v_mul_f64 v[48:49], v[62:63], v[38:39]
	v_fma_f64 v[95:96], v[60:61], v[36:37], -v[48:49]
	v_mul_f64 v[48:49], v[60:61], v[38:39]
	v_fma_f64 v[107:108], v[62:63], v[36:37], v[48:49]
	s_waitcnt lgkmcnt(2)
	v_mul_f64 v[48:49], v[66:67], v[26:27]
	v_add_f64 v[101:102], v[105:106], -v[107:108]
	v_fma_f64 v[62:63], v[64:65], v[24:25], -v[48:49]
	v_mul_f64 v[48:49], v[64:65], v[26:27]
	v_fma_f64 v[60:61], v[66:67], v[24:25], v[48:49]
	s_waitcnt lgkmcnt(1)
	v_mul_f64 v[48:49], v[70:71], v[42:43]
	v_fma_f64 v[64:65], v[68:69], v[40:41], -v[48:49]
	v_mul_f64 v[48:49], v[68:69], v[42:43]
	v_add_f64 v[97:98], v[64:65], -v[95:96]
	v_fma_f64 v[66:67], v[70:71], v[40:41], v[48:49]
	global_load_dwordx4 v[48:51], v[76:77], off offset:768
	v_add_f64 v[103:104], v[95:96], -v[64:65]
	v_add_f64 v[86:87], v[86:87], v[97:98]
	v_add_f64 v[70:71], v[90:91], -v[66:67]
	v_add_f64 v[97:98], v[93:94], -v[82:83]
	v_add_f64 v[103:104], v[97:98], v[103:104]
	s_waitcnt vmcnt(0) lgkmcnt(0)
	v_mul_f64 v[68:69], v[58:59], v[50:51]
	v_fma_f64 v[68:69], v[56:57], v[48:49], -v[68:69]
	v_mul_f64 v[56:57], v[56:57], v[50:51]
	v_fma_f64 v[56:57], v[58:59], v[48:49], v[56:57]
	v_add_f64 v[58:59], v[52:53], v[82:83]
	v_add_f64 v[58:59], v[58:59], v[93:94]
	;; [unrolled: 1-line block ×5, first 2 shown]
	v_fma_f64 v[58:59], v[58:59], -0.5, v[52:53]
	v_fma_f64 v[78:79], v[70:71], s[16:17], v[58:59]
	v_fma_f64 v[58:59], v[70:71], s[10:11], v[58:59]
	;; [unrolled: 1-line block ×6, first 2 shown]
	v_add_f64 v[58:59], v[82:83], v[64:65]
	v_fma_f64 v[52:53], v[58:59], -0.5, v[52:53]
	v_fma_f64 v[58:59], v[101:102], s[10:11], v[52:53]
	v_fma_f64 v[52:53], v[101:102], s[16:17], v[52:53]
	;; [unrolled: 1-line block ×4, first 2 shown]
	v_add_f64 v[70:71], v[93:94], -v[95:96]
	v_add_f64 v[93:94], v[66:67], -v[107:108]
	v_fma_f64 v[97:98], v[103:104], s[8:9], v[58:59]
	v_fma_f64 v[103:104], v[103:104], s[8:9], v[52:53]
	v_add_f64 v[52:53], v[54:55], v[90:91]
	v_add_f64 v[58:59], v[82:83], -v[64:65]
	v_add_f64 v[82:83], v[90:91], -v[105:106]
	v_add_f64 v[52:53], v[52:53], v[105:106]
	v_add_f64 v[82:83], v[82:83], v[93:94]
	;; [unrolled: 1-line block ×5, first 2 shown]
	v_fma_f64 v[52:53], v[52:53], -0.5, v[54:55]
	v_fma_f64 v[64:65], v[58:59], s[10:11], v[52:53]
	v_fma_f64 v[52:53], v[58:59], s[16:17], v[52:53]
	;; [unrolled: 1-line block ×6, first 2 shown]
	v_add_f64 v[52:53], v[90:91], v[66:67]
	v_add_f64 v[64:65], v[105:106], -v[90:91]
	v_add_f64 v[66:67], v[107:108], -v[66:67]
	v_fma_f64 v[52:53], v[52:53], -0.5, v[54:55]
	v_add_f64 v[64:65], v[64:65], v[66:67]
	v_add_f64 v[66:67], v[80:81], -v[99:100]
	v_fma_f64 v[54:55], v[70:71], s[16:17], v[52:53]
	v_fma_f64 v[52:53], v[70:71], s[10:11], v[52:53]
	v_add_f64 v[70:71], v[68:69], -v[62:63]
	v_fma_f64 v[54:55], v[58:59], s[2:3], v[54:55]
	v_fma_f64 v[52:53], v[58:59], s[18:19], v[52:53]
	v_add_f64 v[66:67], v[66:67], v[70:71]
	v_fma_f64 v[93:94], v[64:65], s[8:9], v[54:55]
	v_fma_f64 v[90:91], v[64:65], s[8:9], v[52:53]
	v_add_f64 v[52:53], v[88:89], v[80:81]
	v_add_f64 v[54:55], v[72:73], -v[56:57]
	v_add_f64 v[64:65], v[84:85], -v[60:61]
	v_add_f64 v[52:53], v[52:53], v[99:100]
	v_add_f64 v[52:53], v[52:53], v[62:63]
	;; [unrolled: 1-line block ×4, first 2 shown]
	v_fma_f64 v[52:53], v[52:53], -0.5, v[88:89]
	v_fma_f64 v[58:59], v[54:55], s[16:17], v[52:53]
	v_fma_f64 v[52:53], v[54:55], s[10:11], v[52:53]
	;; [unrolled: 1-line block ×6, first 2 shown]
	v_add_f64 v[52:53], v[80:81], v[68:69]
	v_add_f64 v[66:67], v[99:100], -v[80:81]
	v_fma_f64 v[52:53], v[52:53], -0.5, v[88:89]
	v_add_f64 v[88:89], v[62:63], -v[68:69]
	v_add_f64 v[62:63], v[99:100], -v[62:63]
	v_fma_f64 v[58:59], v[64:65], s[10:11], v[52:53]
	v_fma_f64 v[52:53], v[64:65], s[16:17], v[52:53]
	v_add_f64 v[66:67], v[66:67], v[88:89]
	v_add_f64 v[64:65], v[72:73], -v[84:85]
	v_fma_f64 v[58:59], v[54:55], s[18:19], v[58:59]
	v_fma_f64 v[52:53], v[54:55], s[2:3], v[52:53]
	v_add_f64 v[54:55], v[80:81], -v[68:69]
	v_fma_f64 v[88:89], v[66:67], s[8:9], v[58:59]
	v_fma_f64 v[109:110], v[66:67], s[8:9], v[52:53]
	v_add_f64 v[52:53], v[74:75], v[72:73]
	v_add_f64 v[66:67], v[56:57], -v[60:61]
	v_add_f64 v[52:53], v[52:53], v[84:85]
	v_add_f64 v[64:65], v[64:65], v[66:67]
	v_add_f64 v[52:53], v[52:53], v[60:61]
	v_add_f64 v[111:112], v[52:53], v[56:57]
	v_add_f64 v[52:53], v[84:85], v[60:61]
	v_fma_f64 v[52:53], v[52:53], -0.5, v[74:75]
	v_fma_f64 v[58:59], v[54:55], s[10:11], v[52:53]
	v_fma_f64 v[52:53], v[54:55], s[16:17], v[52:53]
	;; [unrolled: 1-line block ×6, first 2 shown]
	v_add_f64 v[52:53], v[72:73], v[56:57]
	v_add_f64 v[64:65], v[84:85], -v[72:73]
	v_add_f64 v[56:57], v[60:61], -v[56:57]
	v_fma_f64 v[52:53], v[52:53], -0.5, v[74:75]
	v_add_f64 v[56:57], v[64:65], v[56:57]
	v_fma_f64 v[58:59], v[62:63], s[16:17], v[52:53]
	v_fma_f64 v[52:53], v[62:63], s[10:11], v[52:53]
	v_fma_f64 v[58:59], v[54:55], s[2:3], v[58:59]
	v_fma_f64 v[52:53], v[54:55], s[18:19], v[52:53]
	v_fma_f64 v[72:73], v[56:57], s[8:9], v[58:59]
	v_fma_f64 v[62:63], v[56:57], s[8:9], v[52:53]
	v_mul_f64 v[52:53], v[66:67], s[18:19]
	v_add_f64 v[56:57], v[76:77], v[105:106]
	v_add_f64 v[58:59], v[101:102], v[111:112]
	v_mul_f64 v[54:55], v[72:73], s[16:17]
	v_fma_f64 v[74:75], v[70:71], s[20:21], v[52:53]
	v_fma_f64 v[99:100], v[88:89], s[8:9], v[54:55]
	v_mul_f64 v[54:55], v[109:110], s[8:9]
	v_add_f64 v[52:53], v[78:79], v[74:75]
	v_add_f64 v[84:85], v[78:79], -v[74:75]
	v_add_f64 v[74:75], v[101:102], -v[111:112]
	v_add_f64 v[64:65], v[97:98], v[99:100]
	v_fma_f64 v[117:118], v[62:63], s[16:17], -v[54:55]
	v_mul_f64 v[54:55], v[107:108], s[20:21]
	v_mul_f64 v[62:63], v[62:63], s[8:9]
	v_add_f64 v[60:61], v[103:104], v[117:118]
	v_fma_f64 v[119:120], v[80:81], s[18:19], -v[54:55]
	v_mul_f64 v[54:55], v[70:71], s[2:3]
	v_mul_f64 v[70:71], v[80:81], s[20:21]
	v_fma_f64 v[109:110], v[109:110], s[10:11], -v[62:63]
	v_add_f64 v[68:69], v[86:87], v[119:120]
	v_fma_f64 v[121:122], v[66:67], s[20:21], v[54:55]
	v_mul_f64 v[66:67], v[88:89], s[10:11]
	v_fma_f64 v[107:108], v[107:108], s[2:3], -v[70:71]
	v_add_f64 v[62:63], v[90:91], v[109:110]
	v_add_f64 v[88:89], v[103:104], -v[117:118]
	v_add_f64 v[80:81], v[86:87], -v[119:120]
	;; [unrolled: 1-line block ×3, first 2 shown]
	v_add_f64 v[54:55], v[95:96], v[121:122]
	v_fma_f64 v[123:124], v[72:73], s[8:9], v[66:67]
	v_add_f64 v[70:71], v[82:83], v[107:108]
	v_add_f64 v[72:73], v[76:77], -v[105:106]
	v_add_f64 v[76:77], v[97:98], -v[99:100]
	;; [unrolled: 1-line block ×4, first 2 shown]
	v_add_f64 v[66:67], v[93:94], v[123:124]
	v_add_f64 v[78:79], v[93:94], -v[123:124]
	s_and_saveexec_b64 s[2:3], s[0:1]
	s_cbranch_execz .LBB0_11
; %bb.10:
	ds_write_b128 v113, v[56:59]
	ds_write_b128 v113, v[52:55] offset:800
	ds_write_b128 v113, v[64:67] offset:1600
	;; [unrolled: 1-line block ×9, first 2 shown]
.LBB0_11:
	s_or_b64 exec, exec, s[2:3]
	s_waitcnt lgkmcnt(0)
	s_barrier
	s_and_saveexec_b64 s[2:3], s[0:1]
	s_cbranch_execz .LBB0_13
; %bb.12:
	v_add_co_u32_e32 v107, vcc, s14, v113
	v_mov_b32_e32 v93, s15
	v_addc_co_u32_e32 v108, vcc, 0, v93, vcc
	v_add_co_u32_e32 v105, vcc, 0x1f40, v107
	v_addc_co_u32_e32 v106, vcc, 0, v108, vcc
	v_add_co_u32_e32 v97, vcc, 0x1000, v107
	v_addc_co_u32_e32 v98, vcc, 0, v108, vcc
	global_load_dwordx4 v[97:100], v[97:98], off offset:3904
	ds_read_b128 v[93:96], v113
	s_movk_i32 s8, 0x3000
	s_waitcnt vmcnt(0) lgkmcnt(0)
	v_mul_f64 v[101:102], v[95:96], v[99:100]
	v_fma_f64 v[101:102], v[93:94], v[97:98], -v[101:102]
	v_mul_f64 v[93:94], v[93:94], v[99:100]
	v_fma_f64 v[103:104], v[95:96], v[97:98], v[93:94]
	global_load_dwordx4 v[97:100], v[105:106], off offset:800
	ds_read_b128 v[93:96], v113 offset:800
	ds_write_b128 v113, v[101:104]
	s_waitcnt vmcnt(0) lgkmcnt(1)
	v_mul_f64 v[101:102], v[95:96], v[99:100]
	v_fma_f64 v[101:102], v[93:94], v[97:98], -v[101:102]
	v_mul_f64 v[93:94], v[93:94], v[99:100]
	v_fma_f64 v[103:104], v[95:96], v[97:98], v[93:94]
	global_load_dwordx4 v[97:100], v[105:106], off offset:1600
	ds_read_b128 v[93:96], v113 offset:1600
	ds_write_b128 v113, v[101:104] offset:800
	s_waitcnt vmcnt(0) lgkmcnt(1)
	v_mul_f64 v[101:102], v[95:96], v[99:100]
	v_fma_f64 v[101:102], v[93:94], v[97:98], -v[101:102]
	v_mul_f64 v[93:94], v[93:94], v[99:100]
	v_fma_f64 v[103:104], v[95:96], v[97:98], v[93:94]
	global_load_dwordx4 v[97:100], v[105:106], off offset:2400
	ds_read_b128 v[93:96], v113 offset:2400
	ds_write_b128 v113, v[101:104] offset:1600
	;; [unrolled: 8-line block ×3, first 2 shown]
	s_waitcnt vmcnt(0) lgkmcnt(1)
	v_mul_f64 v[101:102], v[95:96], v[99:100]
	v_fma_f64 v[101:102], v[93:94], v[97:98], -v[101:102]
	v_mul_f64 v[93:94], v[93:94], v[99:100]
	v_fma_f64 v[103:104], v[95:96], v[97:98], v[93:94]
	global_load_dwordx4 v[97:100], v[105:106], off offset:4000
	ds_read_b128 v[93:96], v113 offset:4000
	v_add_co_u32_e32 v105, vcc, s8, v107
	v_addc_co_u32_e32 v106, vcc, 0, v108, vcc
	ds_write_b128 v113, v[101:104] offset:3200
	s_waitcnt vmcnt(0) lgkmcnt(1)
	v_mul_f64 v[101:102], v[95:96], v[99:100]
	v_fma_f64 v[101:102], v[93:94], v[97:98], -v[101:102]
	v_mul_f64 v[93:94], v[93:94], v[99:100]
	v_fma_f64 v[103:104], v[95:96], v[97:98], v[93:94]
	global_load_dwordx4 v[97:100], v[105:106], off offset:512
	ds_read_b128 v[93:96], v113 offset:4800
	ds_write_b128 v113, v[101:104] offset:4000
	s_waitcnt vmcnt(0) lgkmcnt(1)
	v_mul_f64 v[101:102], v[95:96], v[99:100]
	v_fma_f64 v[101:102], v[93:94], v[97:98], -v[101:102]
	v_mul_f64 v[93:94], v[93:94], v[99:100]
	v_fma_f64 v[103:104], v[95:96], v[97:98], v[93:94]
	global_load_dwordx4 v[97:100], v[105:106], off offset:1312
	ds_read_b128 v[93:96], v113 offset:5600
	;; [unrolled: 8-line block ×4, first 2 shown]
	ds_write_b128 v113, v[101:104] offset:6400
	s_waitcnt vmcnt(0) lgkmcnt(1)
	v_mul_f64 v[101:102], v[95:96], v[99:100]
	v_fma_f64 v[101:102], v[93:94], v[97:98], -v[101:102]
	v_mul_f64 v[93:94], v[93:94], v[99:100]
	v_fma_f64 v[103:104], v[95:96], v[97:98], v[93:94]
	ds_write_b128 v113, v[101:104] offset:7200
.LBB0_13:
	s_or_b64 exec, exec, s[2:3]
	s_waitcnt lgkmcnt(0)
	s_barrier
	s_and_saveexec_b64 s[2:3], s[0:1]
	s_cbranch_execz .LBB0_15
; %bb.14:
	ds_read_b128 v[56:59], v113
	ds_read_b128 v[52:55], v113 offset:800
	ds_read_b128 v[64:67], v113 offset:1600
	;; [unrolled: 1-line block ×9, first 2 shown]
.LBB0_15:
	s_or_b64 exec, exec, s[2:3]
	s_waitcnt lgkmcnt(3)
	v_add_f64 v[93:94], v[68:69], v[84:85]
	v_add_f64 v[95:96], v[56:57], v[64:65]
	s_waitcnt lgkmcnt(1)
	v_add_f64 v[97:98], v[66:67], -v[90:91]
	v_add_f64 v[105:106], v[64:65], v[88:89]
	s_mov_b32 s8, 0x134454ff
	s_mov_b32 s9, 0xbfee6f0e
	v_add_f64 v[99:100], v[70:71], -v[86:87]
	v_add_f64 v[101:102], v[64:65], -v[68:69]
	v_fma_f64 v[93:94], v[93:94], -0.5, v[56:57]
	v_add_f64 v[103:104], v[88:89], -v[84:85]
	v_add_f64 v[95:96], v[95:96], v[68:69]
	v_add_f64 v[117:118], v[70:71], v[86:87]
	v_fma_f64 v[56:57], v[105:106], -0.5, v[56:57]
	s_mov_b32 s2, 0x4755a5e
	s_mov_b32 s3, 0xbfe2cf23
	s_mov_b32 s17, 0x3fee6f0e
	v_fma_f64 v[107:108], v[97:98], s[8:9], v[93:94]
	s_mov_b32 s16, s8
	v_add_f64 v[111:112], v[58:59], v[66:67]
	v_add_f64 v[101:102], v[101:102], v[103:104]
	;; [unrolled: 1-line block ×3, first 2 shown]
	v_fma_f64 v[105:106], v[117:118], -0.5, v[58:59]
	v_fma_f64 v[117:118], v[99:100], s[16:17], v[56:57]
	v_fma_f64 v[56:57], v[99:100], s[8:9], v[56:57]
	;; [unrolled: 1-line block ×4, first 2 shown]
	s_mov_b32 s10, 0x372fe950
	s_mov_b32 s11, 0x3fd3c6ef
	;; [unrolled: 1-line block ×4, first 2 shown]
	v_add_f64 v[109:110], v[68:69], -v[64:65]
	v_add_f64 v[64:65], v[64:65], -v[88:89]
	v_add_f64 v[93:94], v[95:96], v[88:89]
	v_fma_f64 v[95:96], v[101:102], s[10:11], v[103:104]
	v_add_f64 v[88:89], v[84:85], -v[88:89]
	v_add_f64 v[103:104], v[111:112], v[70:71]
	v_add_f64 v[68:69], v[68:69], -v[84:85]
	v_add_f64 v[84:85], v[66:67], -v[70:71]
	;; [unrolled: 1-line block ×3, first 2 shown]
	v_fma_f64 v[99:100], v[99:100], s[18:19], v[107:108]
	v_fma_f64 v[107:108], v[97:98], s[2:3], v[117:118]
	;; [unrolled: 1-line block ×3, first 2 shown]
	v_add_f64 v[97:98], v[66:67], v[90:91]
	v_fma_f64 v[111:112], v[64:65], s[16:17], v[105:106]
	v_add_f64 v[109:110], v[109:110], v[88:89]
	v_add_f64 v[103:104], v[103:104], v[86:87]
	;; [unrolled: 1-line block ×4, first 2 shown]
	v_fma_f64 v[105:106], v[64:65], s[8:9], v[105:106]
	v_fma_f64 v[84:85], v[101:102], s[10:11], v[99:100]
	v_fma_f64 v[58:59], v[97:98], -0.5, v[58:59]
	v_fma_f64 v[111:112], v[68:69], s[18:19], v[111:112]
	v_fma_f64 v[88:89], v[109:110], s[10:11], v[107:108]
	;; [unrolled: 1-line block ×3, first 2 shown]
	v_add_f64 v[99:100], v[103:104], v[90:91]
	v_add_f64 v[56:57], v[52:53], v[60:61]
	v_fma_f64 v[103:104], v[119:120], -0.5, v[52:53]
	s_waitcnt lgkmcnt(0)
	v_add_f64 v[107:108], v[62:63], -v[82:83]
	v_fma_f64 v[105:106], v[68:69], s[2:3], v[105:106]
	v_fma_f64 v[109:110], v[68:69], s[8:9], v[58:59]
	v_add_f64 v[66:67], v[70:71], -v[66:67]
	v_add_f64 v[70:71], v[86:87], -v[90:91]
	v_fma_f64 v[58:59], v[68:69], s[16:17], v[58:59]
	v_add_f64 v[68:69], v[60:61], v[80:81]
	v_fma_f64 v[101:102], v[117:118], s[10:11], v[111:112]
	v_add_f64 v[56:57], v[56:57], v[72:73]
	v_fma_f64 v[90:91], v[107:108], s[8:9], v[103:104]
	v_add_f64 v[111:112], v[74:75], -v[78:79]
	v_add_f64 v[119:120], v[60:61], -v[72:73]
	v_add_f64 v[121:122], v[80:81], -v[76:77]
	v_fma_f64 v[86:87], v[117:118], s[10:11], v[105:106]
	v_fma_f64 v[105:106], v[64:65], s[18:19], v[109:110]
	v_add_f64 v[66:67], v[66:67], v[70:71]
	v_fma_f64 v[52:53], v[68:69], -0.5, v[52:53]
	v_fma_f64 v[58:59], v[64:65], s[2:3], v[58:59]
	v_add_f64 v[56:57], v[56:57], v[76:77]
	v_fma_f64 v[64:65], v[111:112], s[2:3], v[90:91]
	v_add_f64 v[68:69], v[119:120], v[121:122]
	;; [unrolled: 2-line block ×3, first 2 shown]
	v_fma_f64 v[103:104], v[66:67], s[10:11], v[105:106]
	v_fma_f64 v[117:118], v[111:112], s[16:17], v[52:53]
	;; [unrolled: 1-line block ×3, first 2 shown]
	v_add_f64 v[58:59], v[62:63], v[82:83]
	v_add_f64 v[90:91], v[56:57], v[80:81]
	v_fma_f64 v[56:57], v[68:69], s[10:11], v[64:65]
	v_fma_f64 v[64:65], v[111:112], s[18:19], v[70:71]
	v_fma_f64 v[66:67], v[109:110], -0.5, v[54:55]
	v_add_f64 v[70:71], v[60:61], -v[80:81]
	v_fma_f64 v[109:110], v[107:108], s[2:3], v[117:118]
	v_add_f64 v[117:118], v[72:73], -v[76:77]
	v_fma_f64 v[58:59], v[58:59], -0.5, v[54:55]
	v_add_f64 v[54:55], v[54:55], v[62:63]
	v_add_f64 v[60:61], v[72:73], -v[60:61]
	v_add_f64 v[72:73], v[76:77], -v[80:81]
	v_fma_f64 v[52:53], v[111:112], s[8:9], v[52:53]
	v_fma_f64 v[76:77], v[70:71], s[16:17], v[66:67]
	v_add_f64 v[80:81], v[62:63], -v[74:75]
	v_add_f64 v[111:112], v[82:83], -v[78:79]
	v_fma_f64 v[119:120], v[117:118], s[8:9], v[58:59]
	v_add_f64 v[62:63], v[74:75], -v[62:63]
	v_add_f64 v[121:122], v[78:79], -v[82:83]
	v_fma_f64 v[58:59], v[117:118], s[16:17], v[58:59]
	v_add_f64 v[54:55], v[54:55], v[74:75]
	v_fma_f64 v[66:67], v[70:71], s[8:9], v[66:67]
	v_fma_f64 v[74:75], v[117:118], s[18:19], v[76:77]
	v_add_f64 v[76:77], v[80:81], v[111:112]
	v_add_f64 v[60:61], v[60:61], v[72:73]
	v_fma_f64 v[72:73], v[70:71], s[18:19], v[119:120]
	v_add_f64 v[62:63], v[62:63], v[121:122]
	v_fma_f64 v[58:59], v[70:71], s[2:3], v[58:59]
	;; [unrolled: 2-line block ×3, first 2 shown]
	v_fma_f64 v[52:53], v[107:108], s[18:19], v[52:53]
	v_fma_f64 v[70:71], v[76:77], s[10:11], v[74:75]
	s_mov_b32 s23, 0xbfd3c6ef
	s_mov_b32 s22, s10
	v_fma_f64 v[74:75], v[62:63], s[10:11], v[72:73]
	v_fma_f64 v[58:59], v[62:63], s[10:11], v[58:59]
	v_add_f64 v[72:73], v[54:55], v[82:83]
	v_fma_f64 v[54:55], v[76:77], s[10:11], v[66:67]
	s_mov_b32 s25, 0xbfe9e377
	s_mov_b32 s24, s20
	v_fma_f64 v[64:65], v[68:69], s[10:11], v[64:65]
	v_fma_f64 v[68:69], v[60:61], s[10:11], v[109:110]
	;; [unrolled: 1-line block ×3, first 2 shown]
	v_mul_f64 v[60:61], v[70:71], s[2:3]
	v_mul_f64 v[62:63], v[74:75], s[8:9]
	;; [unrolled: 1-line block ×8, first 2 shown]
	v_fma_f64 v[74:75], v[56:57], s[20:21], v[60:61]
	v_fma_f64 v[76:77], v[68:69], s[10:11], v[62:63]
	;; [unrolled: 1-line block ×8, first 2 shown]
	v_add_f64 v[52:53], v[93:94], -v[90:91]
	v_add_f64 v[64:65], v[95:96], -v[74:75]
	;; [unrolled: 1-line block ×10, first 2 shown]
	s_barrier
	s_and_saveexec_b64 s[20:21], s[0:1]
	s_cbranch_execz .LBB0_17
; %bb.16:
	v_add_f64 v[119:120], v[99:100], v[72:73]
	v_add_f64 v[117:118], v[93:94], v[90:91]
	;; [unrolled: 1-line block ×10, first 2 shown]
	v_lshlrev_b32_e32 v72, 4, v115
	ds_write_b128 v72, v[117:120]
	ds_write_b128 v72, v[99:102] offset:16
	ds_write_b128 v72, v[107:110] offset:32
	;; [unrolled: 1-line block ×9, first 2 shown]
.LBB0_17:
	s_or_b64 exec, exec, s[20:21]
	s_waitcnt lgkmcnt(0)
	s_barrier
	ds_read_b128 v[72:75], v113 offset:3200
	ds_read_b128 v[76:79], v113 offset:4800
	;; [unrolled: 1-line block ×4, first 2 shown]
	s_waitcnt lgkmcnt(3)
	v_mul_f64 v[88:89], v[10:11], v[74:75]
	s_waitcnt lgkmcnt(2)
	v_mul_f64 v[90:91], v[6:7], v[78:79]
	;; [unrolled: 2-line block ×3, first 2 shown]
	v_mul_f64 v[14:15], v[14:15], v[80:81]
	v_mul_f64 v[10:11], v[10:11], v[72:73]
	;; [unrolled: 1-line block ×3, first 2 shown]
	v_fma_f64 v[72:73], v[8:9], v[72:73], v[88:89]
	v_fma_f64 v[76:77], v[4:5], v[76:77], v[90:91]
	ds_read_b128 v[88:91], v113
	s_waitcnt lgkmcnt(1)
	v_mul_f64 v[95:96], v[2:3], v[84:85]
	v_mul_f64 v[2:3], v[2:3], v[86:87]
	v_fma_f64 v[80:81], v[12:13], v[80:81], v[93:94]
	v_fma_f64 v[12:13], v[12:13], v[82:83], -v[14:15]
	v_fma_f64 v[8:9], v[8:9], v[74:75], -v[10:11]
	;; [unrolled: 1-line block ×3, first 2 shown]
	s_waitcnt lgkmcnt(0)
	s_barrier
	v_fma_f64 v[10:11], v[0:1], v[86:87], -v[95:96]
	v_fma_f64 v[0:1], v[0:1], v[84:85], v[2:3]
	v_add_f64 v[2:3], v[72:73], v[76:77]
	v_add_f64 v[4:5], v[88:89], v[80:81]
	v_add_f64 v[82:83], v[80:81], -v[72:73]
	v_add_f64 v[74:75], v[8:9], -v[6:7]
	;; [unrolled: 1-line block ×3, first 2 shown]
	v_add_f64 v[97:98], v[8:9], v[6:7]
	v_add_f64 v[14:15], v[12:13], -v[10:11]
	v_add_f64 v[78:79], v[80:81], v[0:1]
	v_fma_f64 v[2:3], v[2:3], -0.5, v[88:89]
	v_add_f64 v[84:85], v[0:1], -v[76:77]
	v_add_f64 v[93:94], v[76:77], -v[0:1]
	v_add_f64 v[4:5], v[4:5], v[72:73]
	v_add_f64 v[99:100], v[12:13], v[10:11]
	;; [unrolled: 1-line block ×3, first 2 shown]
	v_add_f64 v[80:81], v[80:81], -v[0:1]
	v_fma_f64 v[78:79], v[78:79], -0.5, v[88:89]
	v_fma_f64 v[88:89], v[14:15], s[8:9], v[2:3]
	v_add_f64 v[82:83], v[82:83], v[84:85]
	v_fma_f64 v[2:3], v[14:15], s[16:17], v[2:3]
	v_add_f64 v[4:5], v[4:5], v[76:77]
	v_add_f64 v[72:73], v[72:73], -v[76:77]
	v_add_f64 v[76:77], v[86:87], v[93:94]
	v_fma_f64 v[86:87], v[97:98], -0.5, v[90:91]
	v_fma_f64 v[90:91], v[99:100], -0.5, v[90:91]
	v_fma_f64 v[88:89], v[74:75], s[2:3], v[88:89]
	v_fma_f64 v[84:85], v[74:75], s[16:17], v[78:79]
	;; [unrolled: 1-line block ×3, first 2 shown]
	v_add_f64 v[0:1], v[4:5], v[0:1]
	v_fma_f64 v[74:75], v[74:75], s[8:9], v[78:79]
	v_add_f64 v[78:79], v[95:96], v[8:9]
	v_add_f64 v[93:94], v[12:13], -v[8:9]
	v_add_f64 v[95:96], v[10:11], -v[6:7]
	v_fma_f64 v[4:5], v[82:83], s[10:11], v[88:89]
	v_fma_f64 v[88:89], v[80:81], s[16:17], v[86:87]
	;; [unrolled: 1-line block ×3, first 2 shown]
	v_add_f64 v[8:9], v[8:9], -v[12:13]
	v_add_f64 v[12:13], v[6:7], -v[10:11]
	v_fma_f64 v[90:91], v[72:73], s[16:17], v[90:91]
	v_fma_f64 v[86:87], v[80:81], s[8:9], v[86:87]
	;; [unrolled: 1-line block ×4, first 2 shown]
	v_add_f64 v[6:7], v[78:79], v[6:7]
	v_fma_f64 v[74:75], v[72:73], s[18:19], v[88:89]
	v_add_f64 v[78:79], v[93:94], v[95:96]
	v_fma_f64 v[88:89], v[80:81], s[18:19], v[97:98]
	;; [unrolled: 2-line block ×3, first 2 shown]
	v_fma_f64 v[86:87], v[72:73], s[2:3], v[86:87]
	v_fma_f64 v[12:13], v[82:83], s[10:11], v[2:3]
	;; [unrolled: 1-line block ×4, first 2 shown]
	v_add_f64 v[2:3], v[6:7], v[10:11]
	v_fma_f64 v[6:7], v[78:79], s[10:11], v[74:75]
	v_fma_f64 v[74:75], v[93:94], s[10:11], v[88:89]
	;; [unrolled: 1-line block ×4, first 2 shown]
	ds_write_b128 v116, v[0:3]
	ds_write_b128 v116, v[4:7] offset:160
	ds_write_b128 v116, v[72:75] offset:320
	;; [unrolled: 1-line block ×4, first 2 shown]
	s_waitcnt lgkmcnt(0)
	s_barrier
	s_and_saveexec_b64 s[2:3], s[0:1]
	s_cbranch_execz .LBB0_19
; %bb.18:
	ds_read_b128 v[0:3], v113
	ds_read_b128 v[4:7], v113 offset:800
	ds_read_b128 v[72:75], v113 offset:1600
	;; [unrolled: 1-line block ×9, first 2 shown]
.LBB0_19:
	s_or_b64 exec, exec, s[2:3]
	s_and_saveexec_b64 s[2:3], s[0:1]
	s_cbranch_execz .LBB0_21
; %bb.20:
	s_waitcnt lgkmcnt(5)
	v_mul_f64 v[76:77], v[30:31], v[12:13]
	s_waitcnt lgkmcnt(3)
	v_mul_f64 v[78:79], v[38:39], v[64:65]
	v_mul_f64 v[80:81], v[34:35], v[72:73]
	s_waitcnt lgkmcnt(1)
	v_mul_f64 v[82:83], v[42:43], v[68:69]
	v_mul_f64 v[34:35], v[34:35], v[74:75]
	;; [unrolled: 1-line block ×3, first 2 shown]
	s_mov_b32 s16, 0x4755a5e
	s_mov_b32 s17, 0xbfe2cf23
	v_fma_f64 v[76:77], v[28:29], v[14:15], -v[76:77]
	v_fma_f64 v[78:79], v[36:37], v[66:67], -v[78:79]
	v_mul_f64 v[14:15], v[30:31], v[14:15]
	v_mul_f64 v[30:31], v[38:39], v[66:67]
	v_fma_f64 v[38:39], v[32:33], v[74:75], -v[80:81]
	v_fma_f64 v[66:67], v[40:41], v[70:71], -v[82:83]
	v_fma_f64 v[32:33], v[32:33], v[72:73], v[34:35]
	v_fma_f64 v[34:35], v[40:41], v[68:69], v[42:43]
	v_mul_f64 v[42:43], v[46:47], v[54:55]
	v_add_f64 v[40:41], v[76:77], v[78:79]
	v_mul_f64 v[68:69], v[26:27], v[58:59]
	v_fma_f64 v[14:15], v[28:29], v[12:13], v[14:15]
	v_fma_f64 v[28:29], v[36:37], v[64:65], v[30:31]
	v_add_f64 v[12:13], v[38:39], -v[76:77]
	v_add_f64 v[30:31], v[66:67], -v[78:79]
	;; [unrolled: 1-line block ×3, first 2 shown]
	v_mul_f64 v[64:65], v[18:19], v[10:11]
	v_fma_f64 v[40:41], v[40:41], -0.5, v[2:3]
	s_waitcnt lgkmcnt(0)
	v_mul_f64 v[70:71], v[50:51], v[62:63]
	v_mul_f64 v[72:73], v[22:23], v[6:7]
	;; [unrolled: 1-line block ×4, first 2 shown]
	v_fma_f64 v[42:43], v[44:45], v[52:53], v[42:43]
	v_fma_f64 v[68:69], v[24:25], v[56:57], v[68:69]
	v_add_f64 v[74:75], v[14:15], -v[28:29]
	v_add_f64 v[12:13], v[12:13], v[30:31]
	v_fma_f64 v[30:31], v[36:37], s[8:9], v[40:41]
	v_mul_f64 v[46:47], v[46:47], v[52:53]
	v_fma_f64 v[52:53], v[16:17], v[8:9], v[64:65]
	v_mul_f64 v[8:9], v[26:27], v[56:57]
	v_fma_f64 v[56:57], v[20:21], v[4:5], v[72:73]
	v_fma_f64 v[10:11], v[16:17], v[10:11], -v[18:19]
	v_fma_f64 v[16:17], v[48:49], v[62:63], -v[50:51]
	v_mul_f64 v[4:5], v[22:23], v[4:5]
	v_fma_f64 v[26:27], v[48:49], v[60:61], v[70:71]
	v_add_f64 v[60:61], v[42:43], v[68:69]
	v_fma_f64 v[18:19], v[44:45], v[54:55], -v[46:47]
	v_fma_f64 v[22:23], v[24:25], v[58:59], -v[8:9]
	v_add_f64 v[62:63], v[42:43], -v[68:69]
	v_add_f64 v[70:71], v[38:39], v[66:67]
	s_mov_b32 s19, 0x3fee6f0e
	v_fma_f64 v[6:7], v[20:21], v[6:7], -v[4:5]
	v_fma_f64 v[20:21], v[74:75], s[16:17], v[30:31]
	v_add_f64 v[30:31], v[10:11], v[16:17]
	v_fma_f64 v[44:45], v[60:61], -0.5, v[56:57]
	v_add_f64 v[54:55], v[10:11], -v[18:19]
	v_add_f64 v[58:59], v[16:17], -v[22:23]
	v_add_f64 v[60:61], v[52:53], v[26:27]
	s_mov_b32 s18, s8
	v_add_f64 v[48:49], v[52:53], -v[26:27]
	v_add_f64 v[50:51], v[18:19], -v[22:23]
	v_fma_f64 v[30:31], v[30:31], -0.5, v[6:7]
	v_add_f64 v[72:73], v[22:23], -v[16:17]
	v_fma_f64 v[70:71], v[70:71], -0.5, v[2:3]
	v_add_f64 v[54:55], v[54:55], v[58:59]
	v_fma_f64 v[58:59], v[60:61], -0.5, v[56:57]
	v_add_f64 v[60:61], v[18:19], -v[10:11]
	s_mov_b32 s21, 0x3fe2cf23
	s_mov_b32 s20, s16
	v_fma_f64 v[80:81], v[62:63], s[18:19], v[30:31]
	v_fma_f64 v[30:31], v[62:63], s[8:9], v[30:31]
	v_add_f64 v[8:9], v[52:53], -v[42:43]
	v_add_f64 v[24:25], v[26:27], -v[68:69]
	;; [unrolled: 1-line block ×3, first 2 shown]
	v_add_f64 v[4:5], v[18:19], v[22:23]
	v_add_f64 v[82:83], v[42:43], -v[52:53]
	v_add_f64 v[84:85], v[68:69], -v[26:27]
	v_fma_f64 v[86:87], v[50:51], s[8:9], v[58:59]
	v_add_f64 v[60:61], v[60:61], v[72:73]
	v_fma_f64 v[72:73], v[48:49], s[16:17], v[80:81]
	v_add_f64 v[80:81], v[76:77], -v[38:39]
	v_add_f64 v[88:89], v[78:79], -v[66:67]
	v_fma_f64 v[93:94], v[12:13], s[10:11], v[20:21]
	v_fma_f64 v[20:21], v[74:75], s[8:9], v[70:71]
	;; [unrolled: 1-line block ×4, first 2 shown]
	v_add_f64 v[24:25], v[8:9], v[24:25]
	v_fma_f64 v[8:9], v[46:47], s[18:19], v[44:45]
	v_fma_f64 v[4:5], v[4:5], -0.5, v[6:7]
	v_fma_f64 v[90:91], v[74:75], s[18:19], v[70:71]
	v_add_f64 v[82:83], v[82:83], v[84:85]
	v_fma_f64 v[84:85], v[46:47], s[20:21], v[86:87]
	v_add_f64 v[80:81], v[80:81], v[88:89]
	v_fma_f64 v[44:45], v[46:47], s[8:9], v[44:45]
	v_fma_f64 v[20:21], v[36:37], s[20:21], v[20:21]
	;; [unrolled: 1-line block ×4, first 2 shown]
	v_add_f64 v[6:7], v[6:7], v[10:11]
	v_add_f64 v[2:3], v[2:3], v[38:39]
	v_fma_f64 v[64:65], v[48:49], s[8:9], v[4:5]
	v_fma_f64 v[8:9], v[50:51], s[20:21], v[8:9]
	;; [unrolled: 1-line block ×8, first 2 shown]
	v_mul_f64 v[20:21], v[30:31], s[10:11]
	v_add_f64 v[6:7], v[6:7], v[18:19]
	v_add_f64 v[2:3], v[2:3], v[76:77]
	v_fma_f64 v[64:65], v[62:63], s[16:17], v[64:65]
	v_fma_f64 v[86:87], v[24:25], s[10:11], v[8:9]
	;; [unrolled: 1-line block ×4, first 2 shown]
	v_add_f64 v[24:25], v[14:15], v[28:29]
	v_add_f64 v[62:63], v[14:15], -v[32:33]
	v_add_f64 v[6:7], v[6:7], v[22:23]
	v_fma_f64 v[22:23], v[44:45], s[18:19], v[20:21]
	v_add_f64 v[20:21], v[32:33], v[34:35]
	v_add_f64 v[2:3], v[2:3], v[78:79]
	v_fma_f64 v[64:65], v[54:55], s[10:11], v[64:65]
	v_fma_f64 v[46:47], v[54:55], s[10:11], v[48:49]
	v_fma_f64 v[24:25], v[24:25], -0.5, v[0:1]
	v_add_f64 v[54:55], v[32:33], -v[14:15]
	v_add_f64 v[50:51], v[6:7], v[16:17]
	v_add_f64 v[38:39], v[38:39], -v[66:67]
	v_fma_f64 v[6:7], v[20:21], -0.5, v[0:1]
	v_add_f64 v[0:1], v[0:1], v[32:33]
	v_add_f64 v[32:33], v[56:57], v[52:53]
	;; [unrolled: 1-line block ×3, first 2 shown]
	v_add_f64 v[2:3], v[76:77], -v[78:79]
	v_fma_f64 v[72:73], v[60:61], s[10:11], v[72:73]
	v_add_f64 v[58:59], v[34:35], -v[28:29]
	v_fma_f64 v[60:61], v[38:39], s[18:19], v[24:25]
	v_add_f64 v[66:67], v[28:29], -v[34:35]
	v_add_f64 v[0:1], v[0:1], v[14:15]
	v_add_f64 v[14:15], v[32:33], v[42:43]
	v_fma_f64 v[24:25], v[38:39], s[8:9], v[24:25]
	v_fma_f64 v[70:71], v[2:3], s[8:9], v[6:7]
	;; [unrolled: 1-line block ×3, first 2 shown]
	s_mov_b32 s22, 0x9b97f4a8
	s_mov_b32 s23, 0xbfe9e377
	;; [unrolled: 1-line block ×4, first 2 shown]
	v_add_f64 v[0:1], v[0:1], v[28:29]
	v_add_f64 v[14:15], v[14:15], v[68:69]
	v_fma_f64 v[10:11], v[74:75], s[20:21], v[10:11]
	v_mul_f64 v[36:37], v[46:47], s[26:27]
	v_add_f64 v[54:55], v[54:55], v[58:59]
	v_fma_f64 v[58:59], v[2:3], s[20:21], v[60:61]
	v_add_f64 v[56:57], v[62:63], v[66:67]
	v_fma_f64 v[60:61], v[38:39], s[20:21], v[70:71]
	v_fma_f64 v[32:33], v[38:39], s[16:17], v[6:7]
	;; [unrolled: 1-line block ×3, first 2 shown]
	v_mul_f64 v[28:29], v[46:47], s[16:17]
	s_mov_b32 s25, 0xbfd3c6ef
	s_mov_b32 s24, s10
	v_mul_f64 v[30:31], v[30:31], s[8:9]
	v_fma_f64 v[84:85], v[82:83], s[10:11], v[84:85]
	v_mul_f64 v[90:91], v[72:73], s[24:25]
	v_mul_f64 v[62:63], v[72:73], s[8:9]
	;; [unrolled: 1-line block ×4, first 2 shown]
	v_add_f64 v[0:1], v[0:1], v[34:35]
	v_add_f64 v[14:15], v[14:15], v[26:27]
	v_fma_f64 v[10:11], v[12:13], s[10:11], v[10:11]
	v_fma_f64 v[36:37], v[18:19], s[20:21], v[36:37]
	;; [unrolled: 1-line block ×13, first 2 shown]
	v_add_f64 v[12:13], v[40:41], -v[22:23]
	v_add_f64 v[32:33], v[40:41], v[22:23]
	v_add_f64 v[40:41], v[48:49], v[50:51]
	v_add_f64 v[38:39], v[0:1], v[14:15]
	v_add_f64 v[16:17], v[10:11], -v[36:37]
	v_add_f64 v[36:37], v[10:11], v[36:37]
	v_add_f64 v[34:35], v[54:55], v[56:57]
	;; [unrolled: 1-line block ×7, first 2 shown]
	v_add_f64 v[20:21], v[48:49], -v[50:51]
	v_add_f64 v[18:19], v[0:1], -v[14:15]
	;; [unrolled: 1-line block ×8, first 2 shown]
	ds_write_b128 v113, v[38:41]
	ds_write_b128 v113, v[34:37] offset:800
	ds_write_b128 v113, v[30:33] offset:1600
	;; [unrolled: 1-line block ×9, first 2 shown]
.LBB0_21:
	s_or_b64 exec, exec, s[2:3]
	s_waitcnt lgkmcnt(0)
	s_barrier
	s_and_b64 exec, exec, s[0:1]
	s_cbranch_execz .LBB0_23
; %bb.22:
	global_load_dwordx4 v[0:3], v113, s[14:15]
	global_load_dwordx4 v[4:7], v113, s[14:15] offset:800
	global_load_dwordx4 v[8:11], v113, s[14:15] offset:1600
	;; [unrolled: 1-line block ×4, first 2 shown]
	ds_read_b128 v[20:23], v113
	ds_read_b128 v[24:27], v113 offset:800
	global_load_dwordx4 v[28:31], v113, s[14:15] offset:4000
	v_mov_b32_e32 v40, s15
	v_mad_u64_u32 v[66:67], s[2:3], s4, v114, 0
	v_add_co_u32_e32 v41, vcc, s14, v113
	v_mad_u64_u32 v[64:65], s[0:1], s6, v92, 0
	s_mul_hi_u32 s6, s4, 0x320
	s_mul_i32 s2, s4, 0x320
	s_movk_i32 s4, 0x1000
	v_addc_co_u32_e32 v40, vcc, 0, v40, vcc
	v_add_co_u32_e32 v68, vcc, s4, v41
	v_addc_co_u32_e32 v69, vcc, 0, v40, vcc
	ds_read_b128 v[32:35], v113 offset:1600
	ds_read_b128 v[36:39], v113 offset:2400
	global_load_dwordx4 v[40:43], v[68:69], off offset:704
	ds_read_b128 v[44:47], v113 offset:3200
	ds_read_b128 v[48:51], v113 offset:4000
	global_load_dwordx4 v[52:55], v[68:69], off offset:1504
	s_mul_i32 s3, s5, 0x320
	v_mov_b32_e32 v56, v65
	v_mov_b32_e32 v57, v67
	s_add_i32 s3, s6, s3
	v_mad_u64_u32 v[70:71], s[6:7], s7, v92, v[56:57]
	v_mad_u64_u32 v[71:72], s[4:5], s5, v114, v[57:58]
	global_load_dwordx4 v[56:59], v[68:69], off offset:2304
	global_load_dwordx4 v[60:63], v[68:69], off offset:3104
	v_mov_b32_e32 v65, v70
	v_lshlrev_b64 v[64:65], 4, v[64:65]
	v_mov_b32_e32 v67, v71
	v_mov_b32_e32 v73, s13
	v_lshlrev_b64 v[66:67], 4, v[66:67]
	v_add_co_u32_e32 v64, vcc, s12, v64
	v_addc_co_u32_e32 v65, vcc, v73, v65, vcc
	v_add_co_u32_e32 v64, vcc, v64, v66
	v_addc_co_u32_e32 v65, vcc, v65, v67, vcc
	v_mov_b32_e32 v74, s3
	v_add_co_u32_e32 v66, vcc, s2, v64
	v_addc_co_u32_e32 v67, vcc, v65, v74, vcc
	v_mov_b32_e32 v75, s3
	;; [unrolled: 3-line block ×3, first 2 shown]
	v_add_co_u32_e32 v70, vcc, s2, v68
	v_addc_co_u32_e32 v71, vcc, v69, v76, vcc
	s_mov_b32 s0, 0xd2f1a9fc
	s_mov_b32 s1, 0x3f60624d
	s_waitcnt vmcnt(9) lgkmcnt(5)
	v_mul_f64 v[72:73], v[22:23], v[2:3]
	v_mul_f64 v[2:3], v[20:21], v[2:3]
	s_waitcnt vmcnt(8) lgkmcnt(4)
	v_mul_f64 v[74:75], v[26:27], v[6:7]
	v_mul_f64 v[6:7], v[24:25], v[6:7]
	;; [unrolled: 3-line block ×4, first 2 shown]
	v_fma_f64 v[20:21], v[20:21], v[0:1], v[72:73]
	v_fma_f64 v[2:3], v[0:1], v[22:23], -v[2:3]
	v_fma_f64 v[22:23], v[24:25], v[4:5], v[74:75]
	v_fma_f64 v[6:7], v[4:5], v[26:27], -v[6:7]
	;; [unrolled: 2-line block ×4, first 2 shown]
	v_mul_f64 v[0:1], v[20:21], s[0:1]
	v_mul_f64 v[2:3], v[2:3], s[0:1]
	;; [unrolled: 1-line block ×6, first 2 shown]
	s_waitcnt vmcnt(5) lgkmcnt(1)
	v_mul_f64 v[80:81], v[46:47], v[18:19]
	v_mul_f64 v[18:19], v[44:45], v[18:19]
	;; [unrolled: 1-line block ×4, first 2 shown]
	s_waitcnt vmcnt(4) lgkmcnt(0)
	v_mul_f64 v[20:21], v[50:51], v[30:31]
	v_mul_f64 v[22:23], v[48:49], v[30:31]
	global_store_dwordx4 v[64:65], v[0:3], off
	global_store_dwordx4 v[66:67], v[4:7], off
	;; [unrolled: 1-line block ×4, first 2 shown]
	ds_read_b128 v[0:3], v113 offset:4800
	ds_read_b128 v[4:7], v113 offset:5600
	v_fma_f64 v[32:33], v[44:45], v[16:17], v[80:81]
	v_fma_f64 v[18:19], v[16:17], v[46:47], -v[18:19]
	v_fma_f64 v[8:9], v[48:49], v[28:29], v[20:21]
	v_fma_f64 v[10:11], v[28:29], v[50:51], -v[22:23]
	s_waitcnt vmcnt(7) lgkmcnt(1)
	v_mul_f64 v[12:13], v[2:3], v[42:43]
	v_mul_f64 v[14:15], v[0:1], v[42:43]
	v_mov_b32_e32 v24, s3
	v_add_co_u32_e32 v20, vcc, s2, v70
	v_mul_f64 v[16:17], v[32:33], s[0:1]
	v_mul_f64 v[18:19], v[18:19], s[0:1]
	;; [unrolled: 1-line block ×4, first 2 shown]
	v_fma_f64 v[0:1], v[0:1], v[40:41], v[12:13]
	v_fma_f64 v[2:3], v[40:41], v[2:3], -v[14:15]
	s_waitcnt vmcnt(6) lgkmcnt(0)
	v_mul_f64 v[12:13], v[6:7], v[54:55]
	v_mul_f64 v[14:15], v[4:5], v[54:55]
	v_addc_co_u32_e32 v21, vcc, v71, v24, vcc
	global_store_dwordx4 v[20:21], v[16:19], off
	v_mul_f64 v[0:1], v[0:1], s[0:1]
	v_mov_b32_e32 v17, s3
	v_add_co_u32_e32 v16, vcc, s2, v20
	v_addc_co_u32_e32 v17, vcc, v21, v17, vcc
	global_store_dwordx4 v[16:17], v[8:11], off
	v_fma_f64 v[12:13], v[4:5], v[52:53], v[12:13]
	v_fma_f64 v[14:15], v[52:53], v[6:7], -v[14:15]
	ds_read_b128 v[4:7], v113 offset:6400
	ds_read_b128 v[8:11], v113 offset:7200
	v_mov_b32_e32 v18, s3
	v_add_co_u32_e32 v16, vcc, s2, v16
	v_mul_f64 v[2:3], v[2:3], s[0:1]
	v_addc_co_u32_e32 v17, vcc, v17, v18, vcc
	s_waitcnt vmcnt(7) lgkmcnt(1)
	v_mul_f64 v[18:19], v[6:7], v[58:59]
	v_mul_f64 v[20:21], v[4:5], v[58:59]
	s_waitcnt vmcnt(6) lgkmcnt(0)
	v_mul_f64 v[22:23], v[10:11], v[62:63]
	v_mul_f64 v[24:25], v[8:9], v[62:63]
	global_store_dwordx4 v[16:17], v[0:3], off
	s_nop 0
	v_mul_f64 v[0:1], v[12:13], s[0:1]
	v_mul_f64 v[2:3], v[14:15], s[0:1]
	v_fma_f64 v[4:5], v[4:5], v[56:57], v[18:19]
	v_fma_f64 v[6:7], v[56:57], v[6:7], -v[20:21]
	v_fma_f64 v[8:9], v[8:9], v[60:61], v[22:23]
	v_fma_f64 v[10:11], v[60:61], v[10:11], -v[24:25]
	v_mov_b32_e32 v13, s3
	v_add_co_u32_e32 v12, vcc, s2, v16
	v_addc_co_u32_e32 v13, vcc, v17, v13, vcc
	global_store_dwordx4 v[12:13], v[0:3], off
	v_mov_b32_e32 v14, s3
	v_mul_f64 v[0:1], v[4:5], s[0:1]
	v_mul_f64 v[2:3], v[6:7], s[0:1]
	;; [unrolled: 1-line block ×4, first 2 shown]
	v_add_co_u32_e32 v8, vcc, s2, v12
	v_addc_co_u32_e32 v9, vcc, v13, v14, vcc
	global_store_dwordx4 v[8:9], v[0:3], off
	s_nop 0
	v_mov_b32_e32 v1, s3
	v_add_co_u32_e32 v0, vcc, s2, v8
	v_addc_co_u32_e32 v1, vcc, v9, v1, vcc
	global_store_dwordx4 v[0:1], v[4:7], off
.LBB0_23:
	s_endpgm
	.section	.rodata,"a",@progbits
	.p2align	6, 0x0
	.amdhsa_kernel bluestein_single_back_len500_dim1_dp_op_CI_CI
		.amdhsa_group_segment_fixed_size 8000
		.amdhsa_private_segment_fixed_size 0
		.amdhsa_kernarg_size 104
		.amdhsa_user_sgpr_count 6
		.amdhsa_user_sgpr_private_segment_buffer 1
		.amdhsa_user_sgpr_dispatch_ptr 0
		.amdhsa_user_sgpr_queue_ptr 0
		.amdhsa_user_sgpr_kernarg_segment_ptr 1
		.amdhsa_user_sgpr_dispatch_id 0
		.amdhsa_user_sgpr_flat_scratch_init 0
		.amdhsa_user_sgpr_private_segment_size 0
		.amdhsa_uses_dynamic_stack 0
		.amdhsa_system_sgpr_private_segment_wavefront_offset 0
		.amdhsa_system_sgpr_workgroup_id_x 1
		.amdhsa_system_sgpr_workgroup_id_y 0
		.amdhsa_system_sgpr_workgroup_id_z 0
		.amdhsa_system_sgpr_workgroup_info 0
		.amdhsa_system_vgpr_workitem_id 0
		.amdhsa_next_free_vgpr 125
		.amdhsa_next_free_sgpr 28
		.amdhsa_reserve_vcc 1
		.amdhsa_reserve_flat_scratch 0
		.amdhsa_float_round_mode_32 0
		.amdhsa_float_round_mode_16_64 0
		.amdhsa_float_denorm_mode_32 3
		.amdhsa_float_denorm_mode_16_64 3
		.amdhsa_dx10_clamp 1
		.amdhsa_ieee_mode 1
		.amdhsa_fp16_overflow 0
		.amdhsa_exception_fp_ieee_invalid_op 0
		.amdhsa_exception_fp_denorm_src 0
		.amdhsa_exception_fp_ieee_div_zero 0
		.amdhsa_exception_fp_ieee_overflow 0
		.amdhsa_exception_fp_ieee_underflow 0
		.amdhsa_exception_fp_ieee_inexact 0
		.amdhsa_exception_int_div_zero 0
	.end_amdhsa_kernel
	.text
.Lfunc_end0:
	.size	bluestein_single_back_len500_dim1_dp_op_CI_CI, .Lfunc_end0-bluestein_single_back_len500_dim1_dp_op_CI_CI
                                        ; -- End function
	.section	.AMDGPU.csdata,"",@progbits
; Kernel info:
; codeLenInByte = 10780
; NumSgprs: 32
; NumVgprs: 125
; ScratchSize: 0
; MemoryBound: 0
; FloatMode: 240
; IeeeMode: 1
; LDSByteSize: 8000 bytes/workgroup (compile time only)
; SGPRBlocks: 3
; VGPRBlocks: 31
; NumSGPRsForWavesPerEU: 32
; NumVGPRsForWavesPerEU: 125
; Occupancy: 2
; WaveLimiterHint : 1
; COMPUTE_PGM_RSRC2:SCRATCH_EN: 0
; COMPUTE_PGM_RSRC2:USER_SGPR: 6
; COMPUTE_PGM_RSRC2:TRAP_HANDLER: 0
; COMPUTE_PGM_RSRC2:TGID_X_EN: 1
; COMPUTE_PGM_RSRC2:TGID_Y_EN: 0
; COMPUTE_PGM_RSRC2:TGID_Z_EN: 0
; COMPUTE_PGM_RSRC2:TIDIG_COMP_CNT: 0
	.type	__hip_cuid_40b813c449f64b64,@object ; @__hip_cuid_40b813c449f64b64
	.section	.bss,"aw",@nobits
	.globl	__hip_cuid_40b813c449f64b64
__hip_cuid_40b813c449f64b64:
	.byte	0                               ; 0x0
	.size	__hip_cuid_40b813c449f64b64, 1

	.ident	"AMD clang version 19.0.0git (https://github.com/RadeonOpenCompute/llvm-project roc-6.4.0 25133 c7fe45cf4b819c5991fe208aaa96edf142730f1d)"
	.section	".note.GNU-stack","",@progbits
	.addrsig
	.addrsig_sym __hip_cuid_40b813c449f64b64
	.amdgpu_metadata
---
amdhsa.kernels:
  - .args:
      - .actual_access:  read_only
        .address_space:  global
        .offset:         0
        .size:           8
        .value_kind:     global_buffer
      - .actual_access:  read_only
        .address_space:  global
        .offset:         8
        .size:           8
        .value_kind:     global_buffer
      - .actual_access:  read_only
        .address_space:  global
        .offset:         16
        .size:           8
        .value_kind:     global_buffer
      - .actual_access:  read_only
        .address_space:  global
        .offset:         24
        .size:           8
        .value_kind:     global_buffer
      - .actual_access:  read_only
        .address_space:  global
        .offset:         32
        .size:           8
        .value_kind:     global_buffer
      - .offset:         40
        .size:           8
        .value_kind:     by_value
      - .address_space:  global
        .offset:         48
        .size:           8
        .value_kind:     global_buffer
      - .address_space:  global
        .offset:         56
        .size:           8
        .value_kind:     global_buffer
      - .address_space:  global
        .offset:         64
        .size:           8
        .value_kind:     global_buffer
      - .address_space:  global
        .offset:         72
        .size:           8
        .value_kind:     global_buffer
      - .offset:         80
        .size:           4
        .value_kind:     by_value
      - .address_space:  global
        .offset:         88
        .size:           8
        .value_kind:     global_buffer
      - .address_space:  global
        .offset:         96
        .size:           8
        .value_kind:     global_buffer
    .group_segment_fixed_size: 8000
    .kernarg_segment_align: 8
    .kernarg_segment_size: 104
    .language:       OpenCL C
    .language_version:
      - 2
      - 0
    .max_flat_workgroup_size: 100
    .name:           bluestein_single_back_len500_dim1_dp_op_CI_CI
    .private_segment_fixed_size: 0
    .sgpr_count:     32
    .sgpr_spill_count: 0
    .symbol:         bluestein_single_back_len500_dim1_dp_op_CI_CI.kd
    .uniform_work_group_size: 1
    .uses_dynamic_stack: false
    .vgpr_count:     125
    .vgpr_spill_count: 0
    .wavefront_size: 64
amdhsa.target:   amdgcn-amd-amdhsa--gfx906
amdhsa.version:
  - 1
  - 2
...

	.end_amdgpu_metadata
